;; amdgpu-corpus repo=ROCm/rocSPARSE kind=compiled arch=gfx1250 opt=O3
	.amdgcn_target "amdgcn-amd-amdhsa--gfx1250"
	.amdhsa_code_object_version 6
	.section	.text._ZN9rocsparseL20csxtril_count_kernelILj1024EL20rocsparse_diag_type_1ELS1_0EiiEEvT3_PKT2_PKS2_21rocsparse_index_base_PS3_S9_,"axG",@progbits,_ZN9rocsparseL20csxtril_count_kernelILj1024EL20rocsparse_diag_type_1ELS1_0EiiEEvT3_PKT2_PKS2_21rocsparse_index_base_PS3_S9_,comdat
	.globl	_ZN9rocsparseL20csxtril_count_kernelILj1024EL20rocsparse_diag_type_1ELS1_0EiiEEvT3_PKT2_PKS2_21rocsparse_index_base_PS3_S9_ ; -- Begin function _ZN9rocsparseL20csxtril_count_kernelILj1024EL20rocsparse_diag_type_1ELS1_0EiiEEvT3_PKT2_PKS2_21rocsparse_index_base_PS3_S9_
	.p2align	8
	.type	_ZN9rocsparseL20csxtril_count_kernelILj1024EL20rocsparse_diag_type_1ELS1_0EiiEEvT3_PKT2_PKS2_21rocsparse_index_base_PS3_S9_,@function
_ZN9rocsparseL20csxtril_count_kernelILj1024EL20rocsparse_diag_type_1ELS1_0EiiEEvT3_PKT2_PKS2_21rocsparse_index_base_PS3_S9_: ; @_ZN9rocsparseL20csxtril_count_kernelILj1024EL20rocsparse_diag_type_1ELS1_0EiiEEvT3_PKT2_PKS2_21rocsparse_index_base_PS3_S9_
; %bb.0:
	s_clause 0x1
	s_load_b32 s2, s[0:1], 0x3c
	s_load_b32 s3, s[0:1], 0x0
	s_bfe_u32 s4, ttmp6, 0x4000c
	s_and_b32 s5, ttmp6, 15
	s_add_co_i32 s4, s4, 1
	s_getreg_b32 s6, hwreg(HW_REG_IB_STS2, 6, 4)
	s_mul_i32 s4, ttmp9, s4
	s_delay_alu instid0(SALU_CYCLE_1) | instskip(SKIP_4) | instid1(SALU_CYCLE_1)
	s_add_co_i32 s5, s5, s4
	s_wait_kmcnt 0x0
	s_and_b32 s2, s2, 0xffff
	s_cmp_eq_u32 s6, 0
	s_cselect_b32 s4, ttmp9, s5
	v_mad_u32 v0, s4, s2, v0
	s_mov_b32 s2, exec_lo
	s_delay_alu instid0(VALU_DEP_1)
	v_cmpx_gt_i32_e64 s3, v0
	s_cbranch_execz .LBB0_12
; %bb.1:
	s_load_b128 s[4:7], s[0:1], 0x8
	v_dual_mov_b32 v6, 0 :: v_dual_ashrrev_i32 v1, 31, v0
	v_mov_b32_e32 v7, 0
	s_mov_b32 s3, exec_lo
	s_wait_kmcnt 0x0
	s_delay_alu instid0(VALU_DEP_2)
	v_lshl_add_u64 v[2:3], v[0:1], 2, s[4:5]
	global_load_b64 v[4:5], v[2:3], off
	s_wait_loadcnt 0x0
	v_cmpx_lt_i32_e64 v4, v5
	s_cbranch_execz .LBB0_11
; %bb.2:
	s_load_b32 s4, s[0:1], 0x18
	s_mov_b32 s2, -1
	s_mov_b32 s5, exec_lo
	v_dual_mov_b32 v6, 0 :: v_dual_mov_b32 v7, 0
	s_wait_kmcnt 0x0
	v_subrev_nc_u32_e32 v8, s4, v5
	v_subrev_nc_u32_e32 v2, s4, v4
	s_delay_alu instid0(VALU_DEP_1) | instskip(NEXT) | instid1(VALU_DEP_1)
	v_add_max_i32_e64 v3, v2, 1, v8
	v_add_nc_u32_e32 v3, s4, v3
	s_delay_alu instid0(VALU_DEP_1) | instskip(NEXT) | instid1(VALU_DEP_1)
	v_sub_nc_u32_e32 v5, v3, v4
	v_cmpx_lt_u32_e32 1, v5
	s_cbranch_execz .LBB0_6
; %bb.3:
	v_dual_mov_b32 v4, v0 :: v_dual_bitop2_b32 v9, -2, v5 bitop3:0x40
	v_dual_mov_b32 v3, v0 :: v_dual_mov_b32 v10, 0
	v_dual_mov_b32 v11, 0 :: v_dual_mov_b32 v12, 0
	;; [unrolled: 1-line block ×3, first 2 shown]
	s_delay_alu instid0(VALU_DEP_4)
	v_mov_b32_e32 v14, v9
	s_mov_b32 s9, s4
	s_mov_b32 s8, 0
.LBB0_4:                                ; =>This Inner Loop Header: Depth=1
	s_delay_alu instid0(VALU_DEP_2) | instskip(NEXT) | instid1(VALU_DEP_2)
	v_ashrrev_i32_e32 v7, 31, v6
	v_add_nc_u32_e32 v14, -2, v14
	s_delay_alu instid0(VALU_DEP_2) | instskip(NEXT) | instid1(VALU_DEP_2)
	v_lshl_add_u64 v[16:17], v[6:7], 2, s[6:7]
	v_cmp_eq_u32_e32 vcc_lo, 0, v14
	v_add_nc_u32_e32 v6, 2, v6
	global_load_b64 v[16:17], v[16:17], off
	s_or_b32 s8, vcc_lo, s8
	s_wait_loadcnt 0x0
	v_subrev_nc_u32_e32 v7, s9, v17
	v_subrev_nc_u32_e32 v15, s4, v16
	s_delay_alu instid0(VALU_DEP_2) | instskip(NEXT) | instid1(VALU_DEP_1)
	v_cmp_le_i32_e64 s2, v3, v7
	v_add_co_ci_u32_e64 v13, null, 0, v13, s2
	s_delay_alu instid0(VALU_DEP_3) | instskip(NEXT) | instid1(VALU_DEP_1)
	v_cmp_le_i32_e64 s2, v4, v15
	v_add_co_ci_u32_e64 v12, null, 0, v12, s2
	v_cmp_gt_i32_e64 s2, v3, v7
	s_delay_alu instid0(VALU_DEP_1) | instskip(SKIP_1) | instid1(VALU_DEP_1)
	v_add_co_ci_u32_e64 v11, null, 0, v11, s2
	v_cmp_gt_i32_e64 s2, v4, v15
	v_add_co_ci_u32_e64 v10, null, 0, v10, s2
	s_and_not1_b32 exec_lo, exec_lo, s8
	s_cbranch_execnz .LBB0_4
; %bb.5:
	s_or_b32 exec_lo, exec_lo, s8
	v_cmp_ne_u32_e32 vcc_lo, v5, v9
	v_add_nc_u32_e32 v2, v2, v9
	v_dual_add_nc_u32 v7, v10, v11 :: v_dual_add_nc_u32 v6, v12, v13
	s_or_not1_b32 s2, vcc_lo, exec_lo
.LBB0_6:
	s_or_b32 exec_lo, exec_lo, s5
	s_and_saveexec_b32 s5, s2
	s_cbranch_execz .LBB0_10
; %bb.7:
	v_ashrrev_i32_e32 v3, 31, v2
	s_delay_alu instid0(VALU_DEP_1)
	v_lshl_add_u64 v[4:5], v[2:3], 2, s[6:7]
	s_mov_b32 s6, 0
.LBB0_8:                                ; =>This Inner Loop Header: Depth=1
	global_load_b32 v3, v[4:5], off
	v_add_nc_u32_e32 v2, 1, v2
	s_wait_xcnt 0x0
	v_add_nc_u64_e32 v[4:5], 4, v[4:5]
	s_delay_alu instid0(VALU_DEP_2) | instskip(SKIP_3) | instid1(VALU_DEP_1)
	v_cmp_ge_i32_e32 vcc_lo, v2, v8
	s_or_b32 s6, vcc_lo, s6
	s_wait_loadcnt 0x0
	v_subrev_nc_u32_e32 v3, s4, v3
	v_cmp_le_i32_e64 s2, v0, v3
	s_delay_alu instid0(VALU_DEP_1) | instskip(SKIP_1) | instid1(VALU_DEP_1)
	v_add_co_ci_u32_e64 v6, null, 0, v6, s2
	v_cmp_gt_i32_e64 s2, v0, v3
	v_add_co_ci_u32_e64 v7, null, 0, v7, s2
	s_and_not1_b32 exec_lo, exec_lo, s6
	s_cbranch_execnz .LBB0_8
; %bb.9:
	s_or_b32 exec_lo, exec_lo, s6
.LBB0_10:
	s_delay_alu instid0(SALU_CYCLE_1)
	s_or_b32 exec_lo, exec_lo, s5
.LBB0_11:
	s_delay_alu instid0(SALU_CYCLE_1) | instskip(SKIP_3) | instid1(VALU_DEP_1)
	s_or_b32 exec_lo, exec_lo, s3
	s_load_b128 s[0:3], s[0:1], 0x20
	v_lshlrev_b64_e32 v[0:1], 2, v[0:1]
	s_wait_kmcnt 0x0
	v_add_nc_u64_e32 v[2:3], s[0:1], v[0:1]
	v_add_nc_u64_e32 v[0:1], s[2:3], v[0:1]
	global_store_b32 v[2:3], v7, off offset:4
	global_store_b32 v[0:1], v6, off offset:4
.LBB0_12:
	s_endpgm
	.section	.rodata,"a",@progbits
	.p2align	6, 0x0
	.amdhsa_kernel _ZN9rocsparseL20csxtril_count_kernelILj1024EL20rocsparse_diag_type_1ELS1_0EiiEEvT3_PKT2_PKS2_21rocsparse_index_base_PS3_S9_
		.amdhsa_group_segment_fixed_size 0
		.amdhsa_private_segment_fixed_size 0
		.amdhsa_kernarg_size 304
		.amdhsa_user_sgpr_count 2
		.amdhsa_user_sgpr_dispatch_ptr 0
		.amdhsa_user_sgpr_queue_ptr 0
		.amdhsa_user_sgpr_kernarg_segment_ptr 1
		.amdhsa_user_sgpr_dispatch_id 0
		.amdhsa_user_sgpr_kernarg_preload_length 0
		.amdhsa_user_sgpr_kernarg_preload_offset 0
		.amdhsa_user_sgpr_private_segment_size 0
		.amdhsa_wavefront_size32 1
		.amdhsa_uses_dynamic_stack 0
		.amdhsa_enable_private_segment 0
		.amdhsa_system_sgpr_workgroup_id_x 1
		.amdhsa_system_sgpr_workgroup_id_y 0
		.amdhsa_system_sgpr_workgroup_id_z 0
		.amdhsa_system_sgpr_workgroup_info 0
		.amdhsa_system_vgpr_workitem_id 0
		.amdhsa_next_free_vgpr 18
		.amdhsa_next_free_sgpr 10
		.amdhsa_named_barrier_count 0
		.amdhsa_reserve_vcc 1
		.amdhsa_float_round_mode_32 0
		.amdhsa_float_round_mode_16_64 0
		.amdhsa_float_denorm_mode_32 3
		.amdhsa_float_denorm_mode_16_64 3
		.amdhsa_fp16_overflow 0
		.amdhsa_memory_ordered 1
		.amdhsa_forward_progress 1
		.amdhsa_inst_pref_size 6
		.amdhsa_round_robin_scheduling 0
		.amdhsa_exception_fp_ieee_invalid_op 0
		.amdhsa_exception_fp_denorm_src 0
		.amdhsa_exception_fp_ieee_div_zero 0
		.amdhsa_exception_fp_ieee_overflow 0
		.amdhsa_exception_fp_ieee_underflow 0
		.amdhsa_exception_fp_ieee_inexact 0
		.amdhsa_exception_int_div_zero 0
	.end_amdhsa_kernel
	.section	.text._ZN9rocsparseL20csxtril_count_kernelILj1024EL20rocsparse_diag_type_1ELS1_0EiiEEvT3_PKT2_PKS2_21rocsparse_index_base_PS3_S9_,"axG",@progbits,_ZN9rocsparseL20csxtril_count_kernelILj1024EL20rocsparse_diag_type_1ELS1_0EiiEEvT3_PKT2_PKS2_21rocsparse_index_base_PS3_S9_,comdat
.Lfunc_end0:
	.size	_ZN9rocsparseL20csxtril_count_kernelILj1024EL20rocsparse_diag_type_1ELS1_0EiiEEvT3_PKT2_PKS2_21rocsparse_index_base_PS3_S9_, .Lfunc_end0-_ZN9rocsparseL20csxtril_count_kernelILj1024EL20rocsparse_diag_type_1ELS1_0EiiEEvT3_PKT2_PKS2_21rocsparse_index_base_PS3_S9_
                                        ; -- End function
	.set _ZN9rocsparseL20csxtril_count_kernelILj1024EL20rocsparse_diag_type_1ELS1_0EiiEEvT3_PKT2_PKS2_21rocsparse_index_base_PS3_S9_.num_vgpr, 18
	.set _ZN9rocsparseL20csxtril_count_kernelILj1024EL20rocsparse_diag_type_1ELS1_0EiiEEvT3_PKT2_PKS2_21rocsparse_index_base_PS3_S9_.num_agpr, 0
	.set _ZN9rocsparseL20csxtril_count_kernelILj1024EL20rocsparse_diag_type_1ELS1_0EiiEEvT3_PKT2_PKS2_21rocsparse_index_base_PS3_S9_.numbered_sgpr, 10
	.set _ZN9rocsparseL20csxtril_count_kernelILj1024EL20rocsparse_diag_type_1ELS1_0EiiEEvT3_PKT2_PKS2_21rocsparse_index_base_PS3_S9_.num_named_barrier, 0
	.set _ZN9rocsparseL20csxtril_count_kernelILj1024EL20rocsparse_diag_type_1ELS1_0EiiEEvT3_PKT2_PKS2_21rocsparse_index_base_PS3_S9_.private_seg_size, 0
	.set _ZN9rocsparseL20csxtril_count_kernelILj1024EL20rocsparse_diag_type_1ELS1_0EiiEEvT3_PKT2_PKS2_21rocsparse_index_base_PS3_S9_.uses_vcc, 1
	.set _ZN9rocsparseL20csxtril_count_kernelILj1024EL20rocsparse_diag_type_1ELS1_0EiiEEvT3_PKT2_PKS2_21rocsparse_index_base_PS3_S9_.uses_flat_scratch, 0
	.set _ZN9rocsparseL20csxtril_count_kernelILj1024EL20rocsparse_diag_type_1ELS1_0EiiEEvT3_PKT2_PKS2_21rocsparse_index_base_PS3_S9_.has_dyn_sized_stack, 0
	.set _ZN9rocsparseL20csxtril_count_kernelILj1024EL20rocsparse_diag_type_1ELS1_0EiiEEvT3_PKT2_PKS2_21rocsparse_index_base_PS3_S9_.has_recursion, 0
	.set _ZN9rocsparseL20csxtril_count_kernelILj1024EL20rocsparse_diag_type_1ELS1_0EiiEEvT3_PKT2_PKS2_21rocsparse_index_base_PS3_S9_.has_indirect_call, 0
	.section	.AMDGPU.csdata,"",@progbits
; Kernel info:
; codeLenInByte = 652
; TotalNumSgprs: 12
; NumVgprs: 18
; ScratchSize: 0
; MemoryBound: 0
; FloatMode: 240
; IeeeMode: 1
; LDSByteSize: 0 bytes/workgroup (compile time only)
; SGPRBlocks: 0
; VGPRBlocks: 1
; NumSGPRsForWavesPerEU: 12
; NumVGPRsForWavesPerEU: 18
; NamedBarCnt: 0
; Occupancy: 16
; WaveLimiterHint : 0
; COMPUTE_PGM_RSRC2:SCRATCH_EN: 0
; COMPUTE_PGM_RSRC2:USER_SGPR: 2
; COMPUTE_PGM_RSRC2:TRAP_HANDLER: 0
; COMPUTE_PGM_RSRC2:TGID_X_EN: 1
; COMPUTE_PGM_RSRC2:TGID_Y_EN: 0
; COMPUTE_PGM_RSRC2:TGID_Z_EN: 0
; COMPUTE_PGM_RSRC2:TIDIG_COMP_CNT: 0
	.section	.text._ZN9rocsparseL20csxtril_count_kernelILj1024EL20rocsparse_diag_type_1ELS1_1EiiEEvT3_PKT2_PKS2_21rocsparse_index_base_PS3_S9_,"axG",@progbits,_ZN9rocsparseL20csxtril_count_kernelILj1024EL20rocsparse_diag_type_1ELS1_1EiiEEvT3_PKT2_PKS2_21rocsparse_index_base_PS3_S9_,comdat
	.globl	_ZN9rocsparseL20csxtril_count_kernelILj1024EL20rocsparse_diag_type_1ELS1_1EiiEEvT3_PKT2_PKS2_21rocsparse_index_base_PS3_S9_ ; -- Begin function _ZN9rocsparseL20csxtril_count_kernelILj1024EL20rocsparse_diag_type_1ELS1_1EiiEEvT3_PKT2_PKS2_21rocsparse_index_base_PS3_S9_
	.p2align	8
	.type	_ZN9rocsparseL20csxtril_count_kernelILj1024EL20rocsparse_diag_type_1ELS1_1EiiEEvT3_PKT2_PKS2_21rocsparse_index_base_PS3_S9_,@function
_ZN9rocsparseL20csxtril_count_kernelILj1024EL20rocsparse_diag_type_1ELS1_1EiiEEvT3_PKT2_PKS2_21rocsparse_index_base_PS3_S9_: ; @_ZN9rocsparseL20csxtril_count_kernelILj1024EL20rocsparse_diag_type_1ELS1_1EiiEEvT3_PKT2_PKS2_21rocsparse_index_base_PS3_S9_
; %bb.0:
	s_clause 0x1
	s_load_b32 s2, s[0:1], 0x3c
	s_load_b32 s3, s[0:1], 0x0
	s_bfe_u32 s4, ttmp6, 0x4000c
	s_and_b32 s5, ttmp6, 15
	s_add_co_i32 s4, s4, 1
	s_getreg_b32 s6, hwreg(HW_REG_IB_STS2, 6, 4)
	s_mul_i32 s4, ttmp9, s4
	s_delay_alu instid0(SALU_CYCLE_1) | instskip(SKIP_4) | instid1(SALU_CYCLE_1)
	s_add_co_i32 s5, s5, s4
	s_wait_kmcnt 0x0
	s_and_b32 s2, s2, 0xffff
	s_cmp_eq_u32 s6, 0
	s_cselect_b32 s4, ttmp9, s5
	v_mad_u32 v0, s4, s2, v0
	s_mov_b32 s2, exec_lo
	s_delay_alu instid0(VALU_DEP_1)
	v_cmpx_gt_i32_e64 s3, v0
	s_cbranch_execz .LBB1_12
; %bb.1:
	s_load_b128 s[4:7], s[0:1], 0x8
	v_dual_mov_b32 v6, 0 :: v_dual_ashrrev_i32 v1, 31, v0
	v_mov_b32_e32 v7, 0
	s_mov_b32 s3, exec_lo
	s_wait_kmcnt 0x0
	s_delay_alu instid0(VALU_DEP_2)
	v_lshl_add_u64 v[2:3], v[0:1], 2, s[4:5]
	global_load_b64 v[4:5], v[2:3], off
	s_wait_loadcnt 0x0
	v_cmpx_lt_i32_e64 v4, v5
	s_cbranch_execz .LBB1_11
; %bb.2:
	s_load_b32 s4, s[0:1], 0x18
	s_mov_b32 s2, -1
	s_mov_b32 s5, exec_lo
	v_dual_mov_b32 v6, 0 :: v_dual_mov_b32 v7, 0
	s_wait_kmcnt 0x0
	v_subrev_nc_u32_e32 v8, s4, v5
	v_subrev_nc_u32_e32 v2, s4, v4
	s_delay_alu instid0(VALU_DEP_1) | instskip(NEXT) | instid1(VALU_DEP_1)
	v_add_max_i32_e64 v3, v2, 1, v8
	v_add_nc_u32_e32 v3, s4, v3
	s_delay_alu instid0(VALU_DEP_1) | instskip(NEXT) | instid1(VALU_DEP_1)
	v_sub_nc_u32_e32 v5, v3, v4
	v_cmpx_lt_u32_e32 1, v5
	s_cbranch_execz .LBB1_6
; %bb.3:
	v_dual_mov_b32 v4, v0 :: v_dual_bitop2_b32 v9, -2, v5 bitop3:0x40
	v_dual_mov_b32 v3, v0 :: v_dual_mov_b32 v10, 0
	v_dual_mov_b32 v11, 0 :: v_dual_mov_b32 v12, 0
	;; [unrolled: 1-line block ×3, first 2 shown]
	s_delay_alu instid0(VALU_DEP_4)
	v_mov_b32_e32 v14, v9
	s_mov_b32 s9, s4
	s_mov_b32 s8, 0
.LBB1_4:                                ; =>This Inner Loop Header: Depth=1
	s_delay_alu instid0(VALU_DEP_2) | instskip(NEXT) | instid1(VALU_DEP_2)
	v_ashrrev_i32_e32 v7, 31, v6
	v_add_nc_u32_e32 v14, -2, v14
	s_delay_alu instid0(VALU_DEP_2) | instskip(NEXT) | instid1(VALU_DEP_2)
	v_lshl_add_u64 v[16:17], v[6:7], 2, s[6:7]
	v_cmp_eq_u32_e32 vcc_lo, 0, v14
	v_add_nc_u32_e32 v6, 2, v6
	global_load_b64 v[16:17], v[16:17], off
	s_or_b32 s8, vcc_lo, s8
	s_wait_loadcnt 0x0
	v_subrev_nc_u32_e32 v7, s9, v17
	v_subrev_nc_u32_e32 v15, s4, v16
	s_delay_alu instid0(VALU_DEP_2) | instskip(NEXT) | instid1(VALU_DEP_1)
	v_cmp_lt_i32_e64 s2, v3, v7
	v_add_co_ci_u32_e64 v13, null, 0, v13, s2
	s_delay_alu instid0(VALU_DEP_3) | instskip(NEXT) | instid1(VALU_DEP_1)
	v_cmp_lt_i32_e64 s2, v4, v15
	v_add_co_ci_u32_e64 v12, null, 0, v12, s2
	v_cmp_gt_i32_e64 s2, v3, v7
	s_delay_alu instid0(VALU_DEP_1) | instskip(SKIP_1) | instid1(VALU_DEP_1)
	v_add_co_ci_u32_e64 v11, null, 0, v11, s2
	v_cmp_gt_i32_e64 s2, v4, v15
	v_add_co_ci_u32_e64 v10, null, 0, v10, s2
	s_and_not1_b32 exec_lo, exec_lo, s8
	s_cbranch_execnz .LBB1_4
; %bb.5:
	s_or_b32 exec_lo, exec_lo, s8
	v_cmp_ne_u32_e32 vcc_lo, v5, v9
	v_add_nc_u32_e32 v2, v2, v9
	v_dual_add_nc_u32 v7, v10, v11 :: v_dual_add_nc_u32 v6, v12, v13
	s_or_not1_b32 s2, vcc_lo, exec_lo
.LBB1_6:
	s_or_b32 exec_lo, exec_lo, s5
	s_and_saveexec_b32 s5, s2
	s_cbranch_execz .LBB1_10
; %bb.7:
	v_ashrrev_i32_e32 v3, 31, v2
	s_delay_alu instid0(VALU_DEP_1)
	v_lshl_add_u64 v[4:5], v[2:3], 2, s[6:7]
	s_mov_b32 s6, 0
.LBB1_8:                                ; =>This Inner Loop Header: Depth=1
	global_load_b32 v3, v[4:5], off
	v_add_nc_u32_e32 v2, 1, v2
	s_wait_xcnt 0x0
	v_add_nc_u64_e32 v[4:5], 4, v[4:5]
	s_delay_alu instid0(VALU_DEP_2) | instskip(SKIP_3) | instid1(VALU_DEP_1)
	v_cmp_ge_i32_e32 vcc_lo, v2, v8
	s_or_b32 s6, vcc_lo, s6
	s_wait_loadcnt 0x0
	v_subrev_nc_u32_e32 v3, s4, v3
	v_cmp_lt_i32_e64 s2, v0, v3
	s_delay_alu instid0(VALU_DEP_1) | instskip(SKIP_1) | instid1(VALU_DEP_1)
	v_add_co_ci_u32_e64 v6, null, 0, v6, s2
	v_cmp_gt_i32_e64 s2, v0, v3
	v_add_co_ci_u32_e64 v7, null, 0, v7, s2
	s_and_not1_b32 exec_lo, exec_lo, s6
	s_cbranch_execnz .LBB1_8
; %bb.9:
	s_or_b32 exec_lo, exec_lo, s6
.LBB1_10:
	s_delay_alu instid0(SALU_CYCLE_1)
	s_or_b32 exec_lo, exec_lo, s5
.LBB1_11:
	s_delay_alu instid0(SALU_CYCLE_1) | instskip(SKIP_3) | instid1(VALU_DEP_1)
	s_or_b32 exec_lo, exec_lo, s3
	s_load_b128 s[0:3], s[0:1], 0x20
	v_lshlrev_b64_e32 v[0:1], 2, v[0:1]
	s_wait_kmcnt 0x0
	v_add_nc_u64_e32 v[2:3], s[0:1], v[0:1]
	v_add_nc_u64_e32 v[0:1], s[2:3], v[0:1]
	global_store_b32 v[2:3], v7, off offset:4
	global_store_b32 v[0:1], v6, off offset:4
.LBB1_12:
	s_endpgm
	.section	.rodata,"a",@progbits
	.p2align	6, 0x0
	.amdhsa_kernel _ZN9rocsparseL20csxtril_count_kernelILj1024EL20rocsparse_diag_type_1ELS1_1EiiEEvT3_PKT2_PKS2_21rocsparse_index_base_PS3_S9_
		.amdhsa_group_segment_fixed_size 0
		.amdhsa_private_segment_fixed_size 0
		.amdhsa_kernarg_size 304
		.amdhsa_user_sgpr_count 2
		.amdhsa_user_sgpr_dispatch_ptr 0
		.amdhsa_user_sgpr_queue_ptr 0
		.amdhsa_user_sgpr_kernarg_segment_ptr 1
		.amdhsa_user_sgpr_dispatch_id 0
		.amdhsa_user_sgpr_kernarg_preload_length 0
		.amdhsa_user_sgpr_kernarg_preload_offset 0
		.amdhsa_user_sgpr_private_segment_size 0
		.amdhsa_wavefront_size32 1
		.amdhsa_uses_dynamic_stack 0
		.amdhsa_enable_private_segment 0
		.amdhsa_system_sgpr_workgroup_id_x 1
		.amdhsa_system_sgpr_workgroup_id_y 0
		.amdhsa_system_sgpr_workgroup_id_z 0
		.amdhsa_system_sgpr_workgroup_info 0
		.amdhsa_system_vgpr_workitem_id 0
		.amdhsa_next_free_vgpr 18
		.amdhsa_next_free_sgpr 10
		.amdhsa_named_barrier_count 0
		.amdhsa_reserve_vcc 1
		.amdhsa_float_round_mode_32 0
		.amdhsa_float_round_mode_16_64 0
		.amdhsa_float_denorm_mode_32 3
		.amdhsa_float_denorm_mode_16_64 3
		.amdhsa_fp16_overflow 0
		.amdhsa_memory_ordered 1
		.amdhsa_forward_progress 1
		.amdhsa_inst_pref_size 6
		.amdhsa_round_robin_scheduling 0
		.amdhsa_exception_fp_ieee_invalid_op 0
		.amdhsa_exception_fp_denorm_src 0
		.amdhsa_exception_fp_ieee_div_zero 0
		.amdhsa_exception_fp_ieee_overflow 0
		.amdhsa_exception_fp_ieee_underflow 0
		.amdhsa_exception_fp_ieee_inexact 0
		.amdhsa_exception_int_div_zero 0
	.end_amdhsa_kernel
	.section	.text._ZN9rocsparseL20csxtril_count_kernelILj1024EL20rocsparse_diag_type_1ELS1_1EiiEEvT3_PKT2_PKS2_21rocsparse_index_base_PS3_S9_,"axG",@progbits,_ZN9rocsparseL20csxtril_count_kernelILj1024EL20rocsparse_diag_type_1ELS1_1EiiEEvT3_PKT2_PKS2_21rocsparse_index_base_PS3_S9_,comdat
.Lfunc_end1:
	.size	_ZN9rocsparseL20csxtril_count_kernelILj1024EL20rocsparse_diag_type_1ELS1_1EiiEEvT3_PKT2_PKS2_21rocsparse_index_base_PS3_S9_, .Lfunc_end1-_ZN9rocsparseL20csxtril_count_kernelILj1024EL20rocsparse_diag_type_1ELS1_1EiiEEvT3_PKT2_PKS2_21rocsparse_index_base_PS3_S9_
                                        ; -- End function
	.set _ZN9rocsparseL20csxtril_count_kernelILj1024EL20rocsparse_diag_type_1ELS1_1EiiEEvT3_PKT2_PKS2_21rocsparse_index_base_PS3_S9_.num_vgpr, 18
	.set _ZN9rocsparseL20csxtril_count_kernelILj1024EL20rocsparse_diag_type_1ELS1_1EiiEEvT3_PKT2_PKS2_21rocsparse_index_base_PS3_S9_.num_agpr, 0
	.set _ZN9rocsparseL20csxtril_count_kernelILj1024EL20rocsparse_diag_type_1ELS1_1EiiEEvT3_PKT2_PKS2_21rocsparse_index_base_PS3_S9_.numbered_sgpr, 10
	.set _ZN9rocsparseL20csxtril_count_kernelILj1024EL20rocsparse_diag_type_1ELS1_1EiiEEvT3_PKT2_PKS2_21rocsparse_index_base_PS3_S9_.num_named_barrier, 0
	.set _ZN9rocsparseL20csxtril_count_kernelILj1024EL20rocsparse_diag_type_1ELS1_1EiiEEvT3_PKT2_PKS2_21rocsparse_index_base_PS3_S9_.private_seg_size, 0
	.set _ZN9rocsparseL20csxtril_count_kernelILj1024EL20rocsparse_diag_type_1ELS1_1EiiEEvT3_PKT2_PKS2_21rocsparse_index_base_PS3_S9_.uses_vcc, 1
	.set _ZN9rocsparseL20csxtril_count_kernelILj1024EL20rocsparse_diag_type_1ELS1_1EiiEEvT3_PKT2_PKS2_21rocsparse_index_base_PS3_S9_.uses_flat_scratch, 0
	.set _ZN9rocsparseL20csxtril_count_kernelILj1024EL20rocsparse_diag_type_1ELS1_1EiiEEvT3_PKT2_PKS2_21rocsparse_index_base_PS3_S9_.has_dyn_sized_stack, 0
	.set _ZN9rocsparseL20csxtril_count_kernelILj1024EL20rocsparse_diag_type_1ELS1_1EiiEEvT3_PKT2_PKS2_21rocsparse_index_base_PS3_S9_.has_recursion, 0
	.set _ZN9rocsparseL20csxtril_count_kernelILj1024EL20rocsparse_diag_type_1ELS1_1EiiEEvT3_PKT2_PKS2_21rocsparse_index_base_PS3_S9_.has_indirect_call, 0
	.section	.AMDGPU.csdata,"",@progbits
; Kernel info:
; codeLenInByte = 652
; TotalNumSgprs: 12
; NumVgprs: 18
; ScratchSize: 0
; MemoryBound: 0
; FloatMode: 240
; IeeeMode: 1
; LDSByteSize: 0 bytes/workgroup (compile time only)
; SGPRBlocks: 0
; VGPRBlocks: 1
; NumSGPRsForWavesPerEU: 12
; NumVGPRsForWavesPerEU: 18
; NamedBarCnt: 0
; Occupancy: 16
; WaveLimiterHint : 0
; COMPUTE_PGM_RSRC2:SCRATCH_EN: 0
; COMPUTE_PGM_RSRC2:USER_SGPR: 2
; COMPUTE_PGM_RSRC2:TRAP_HANDLER: 0
; COMPUTE_PGM_RSRC2:TGID_X_EN: 1
; COMPUTE_PGM_RSRC2:TGID_Y_EN: 0
; COMPUTE_PGM_RSRC2:TGID_Z_EN: 0
; COMPUTE_PGM_RSRC2:TIDIG_COMP_CNT: 0
	.section	.text._ZN9rocsparseL20csxtril_count_kernelILj1024EL20rocsparse_diag_type_0ELS1_1EiiEEvT3_PKT2_PKS2_21rocsparse_index_base_PS3_S9_,"axG",@progbits,_ZN9rocsparseL20csxtril_count_kernelILj1024EL20rocsparse_diag_type_0ELS1_1EiiEEvT3_PKT2_PKS2_21rocsparse_index_base_PS3_S9_,comdat
	.globl	_ZN9rocsparseL20csxtril_count_kernelILj1024EL20rocsparse_diag_type_0ELS1_1EiiEEvT3_PKT2_PKS2_21rocsparse_index_base_PS3_S9_ ; -- Begin function _ZN9rocsparseL20csxtril_count_kernelILj1024EL20rocsparse_diag_type_0ELS1_1EiiEEvT3_PKT2_PKS2_21rocsparse_index_base_PS3_S9_
	.p2align	8
	.type	_ZN9rocsparseL20csxtril_count_kernelILj1024EL20rocsparse_diag_type_0ELS1_1EiiEEvT3_PKT2_PKS2_21rocsparse_index_base_PS3_S9_,@function
_ZN9rocsparseL20csxtril_count_kernelILj1024EL20rocsparse_diag_type_0ELS1_1EiiEEvT3_PKT2_PKS2_21rocsparse_index_base_PS3_S9_: ; @_ZN9rocsparseL20csxtril_count_kernelILj1024EL20rocsparse_diag_type_0ELS1_1EiiEEvT3_PKT2_PKS2_21rocsparse_index_base_PS3_S9_
; %bb.0:
	s_clause 0x1
	s_load_b32 s2, s[0:1], 0x3c
	s_load_b32 s3, s[0:1], 0x0
	s_bfe_u32 s4, ttmp6, 0x4000c
	s_and_b32 s5, ttmp6, 15
	s_add_co_i32 s4, s4, 1
	s_getreg_b32 s6, hwreg(HW_REG_IB_STS2, 6, 4)
	s_mul_i32 s4, ttmp9, s4
	s_delay_alu instid0(SALU_CYCLE_1) | instskip(SKIP_4) | instid1(SALU_CYCLE_1)
	s_add_co_i32 s5, s5, s4
	s_wait_kmcnt 0x0
	s_and_b32 s2, s2, 0xffff
	s_cmp_eq_u32 s6, 0
	s_cselect_b32 s4, ttmp9, s5
	v_mad_u32 v0, s4, s2, v0
	s_mov_b32 s2, exec_lo
	s_delay_alu instid0(VALU_DEP_1)
	v_cmpx_gt_i32_e64 s3, v0
	s_cbranch_execz .LBB2_20
; %bb.1:
	s_load_b128 s[4:7], s[0:1], 0x8
	v_dual_mov_b32 v6, 0 :: v_dual_ashrrev_i32 v1, 31, v0
	v_mov_b32_e32 v7, 0
	s_mov_b32 s3, exec_lo
	s_wait_kmcnt 0x0
	s_delay_alu instid0(VALU_DEP_2)
	v_lshl_add_u64 v[2:3], v[0:1], 2, s[4:5]
	global_load_b64 v[4:5], v[2:3], off
	s_wait_loadcnt 0x0
	v_cmpx_lt_i32_e64 v4, v5
	s_cbranch_execz .LBB2_19
; %bb.2:
	s_load_b32 s4, s[0:1], 0x18
	s_mov_b32 s8, -1
	s_mov_b32 s5, exec_lo
	v_dual_mov_b32 v6, 0 :: v_dual_mov_b32 v7, 0
	s_wait_kmcnt 0x0
	v_subrev_nc_u32_e32 v8, s4, v5
	v_subrev_nc_u32_e32 v2, s4, v4
	s_delay_alu instid0(VALU_DEP_1) | instskip(NEXT) | instid1(VALU_DEP_1)
	v_add_max_i32_e64 v3, v2, 1, v8
	v_add_nc_u32_e32 v3, s4, v3
	s_delay_alu instid0(VALU_DEP_1) | instskip(NEXT) | instid1(VALU_DEP_1)
	v_sub_nc_u32_e32 v5, v3, v4
	v_cmpx_lt_u32_e32 1, v5
	s_cbranch_execz .LBB2_6
; %bb.3:
	v_dual_mov_b32 v4, v0 :: v_dual_bitop2_b32 v9, -2, v5 bitop3:0x40
	v_dual_mov_b32 v3, v0 :: v_dual_mov_b32 v10, 0
	v_dual_mov_b32 v11, 0 :: v_dual_mov_b32 v12, 0
	;; [unrolled: 1-line block ×3, first 2 shown]
	s_delay_alu instid0(VALU_DEP_4)
	v_mov_b32_e32 v14, v9
	s_mov_b32 s9, s4
	s_mov_b32 s8, 0
.LBB2_4:                                ; =>This Inner Loop Header: Depth=1
	s_delay_alu instid0(VALU_DEP_2) | instskip(NEXT) | instid1(VALU_DEP_2)
	v_ashrrev_i32_e32 v7, 31, v6
	v_add_nc_u32_e32 v14, -2, v14
	s_delay_alu instid0(VALU_DEP_2) | instskip(NEXT) | instid1(VALU_DEP_2)
	v_lshl_add_u64 v[16:17], v[6:7], 2, s[6:7]
	v_cmp_eq_u32_e32 vcc_lo, 0, v14
	v_add_nc_u32_e32 v6, 2, v6
	global_load_b64 v[16:17], v[16:17], off
	s_or_b32 s8, vcc_lo, s8
	s_wait_loadcnt 0x0
	v_subrev_nc_u32_e32 v7, s9, v17
	v_subrev_nc_u32_e32 v15, s4, v16
	s_delay_alu instid0(VALU_DEP_2) | instskip(NEXT) | instid1(VALU_DEP_1)
	v_cmp_lt_i32_e64 s2, v3, v7
	v_add_co_ci_u32_e64 v13, null, 0, v13, s2
	s_delay_alu instid0(VALU_DEP_3) | instskip(NEXT) | instid1(VALU_DEP_1)
	v_cmp_lt_i32_e64 s2, v4, v15
	v_add_co_ci_u32_e64 v12, null, 0, v12, s2
	v_cmp_ge_i32_e64 s2, v3, v7
	s_delay_alu instid0(VALU_DEP_1) | instskip(SKIP_1) | instid1(VALU_DEP_1)
	v_add_co_ci_u32_e64 v11, null, 0, v11, s2
	v_cmp_ge_i32_e64 s2, v4, v15
	v_add_co_ci_u32_e64 v10, null, 0, v10, s2
	s_and_not1_b32 exec_lo, exec_lo, s8
	s_cbranch_execnz .LBB2_4
; %bb.5:
	s_or_b32 exec_lo, exec_lo, s8
	v_cmp_ne_u32_e32 vcc_lo, v5, v9
	v_add_nc_u32_e32 v2, v2, v9
	v_dual_add_nc_u32 v7, v10, v11 :: v_dual_add_nc_u32 v6, v12, v13
	s_or_not1_b32 s8, vcc_lo, exec_lo
.LBB2_6:
	s_or_b32 exec_lo, exec_lo, s5
	s_and_saveexec_b32 s2, s8
	s_cbranch_execz .LBB2_18
; %bb.7:
	v_ashrrev_i32_e32 v3, 31, v2
	s_mov_b32 s5, 0
	s_delay_alu instid0(VALU_DEP_1)
	v_lshl_add_u64 v[4:5], v[2:3], 2, s[6:7]
	s_branch .LBB2_9
.LBB2_8:                                ;   in Loop: Header=BB2_9 Depth=1
	s_or_b32 exec_lo, exec_lo, s6
	v_add_nc_u32_e32 v2, 1, v2
	v_add_nc_u64_e32 v[4:5], 4, v[4:5]
	s_delay_alu instid0(VALU_DEP_2) | instskip(SKIP_1) | instid1(SALU_CYCLE_1)
	v_cmp_ge_i32_e32 vcc_lo, v2, v8
	s_or_b32 s5, vcc_lo, s5
	s_and_not1_b32 exec_lo, exec_lo, s5
	s_cbranch_execz .LBB2_17
.LBB2_9:                                ; =>This Inner Loop Header: Depth=1
	global_load_b32 v3, v[4:5], off
	s_mov_b32 s6, exec_lo
	s_wait_loadcnt 0x0
	v_subrev_nc_u32_e32 v3, s4, v3
	s_delay_alu instid0(VALU_DEP_1)
	v_cmpx_le_i32_e64 v0, v3
	s_xor_b32 s6, exec_lo, s6
	s_cbranch_execz .LBB2_15
; %bb.10:                               ;   in Loop: Header=BB2_9 Depth=1
	s_mov_b32 s7, exec_lo
	v_cmpx_ge_i32_e64 v0, v3
	s_xor_b32 s7, exec_lo, s7
; %bb.11:                               ;   in Loop: Header=BB2_9 Depth=1
	v_add_nc_u32_e32 v7, 1, v7
; %bb.12:                               ;   in Loop: Header=BB2_9 Depth=1
	s_and_not1_saveexec_b32 s7, s7
; %bb.13:                               ;   in Loop: Header=BB2_9 Depth=1
	v_add_nc_u32_e32 v6, 1, v6
; %bb.14:                               ;   in Loop: Header=BB2_9 Depth=1
	s_or_b32 exec_lo, exec_lo, s7
.LBB2_15:                               ;   in Loop: Header=BB2_9 Depth=1
	s_and_not1_saveexec_b32 s6, s6
	s_cbranch_execz .LBB2_8
; %bb.16:                               ;   in Loop: Header=BB2_9 Depth=1
	v_add_nc_u32_e32 v7, 1, v7
	s_branch .LBB2_8
.LBB2_17:
	s_or_b32 exec_lo, exec_lo, s5
.LBB2_18:
	s_delay_alu instid0(SALU_CYCLE_1)
	s_or_b32 exec_lo, exec_lo, s2
.LBB2_19:
	s_delay_alu instid0(SALU_CYCLE_1) | instskip(SKIP_3) | instid1(VALU_DEP_1)
	s_or_b32 exec_lo, exec_lo, s3
	s_load_b128 s[0:3], s[0:1], 0x20
	v_lshlrev_b64_e32 v[0:1], 2, v[0:1]
	s_wait_kmcnt 0x0
	v_add_nc_u64_e32 v[2:3], s[0:1], v[0:1]
	v_add_nc_u64_e32 v[0:1], s[2:3], v[0:1]
	global_store_b32 v[2:3], v7, off offset:4
	global_store_b32 v[0:1], v6, off offset:4
.LBB2_20:
	s_endpgm
	.section	.rodata,"a",@progbits
	.p2align	6, 0x0
	.amdhsa_kernel _ZN9rocsparseL20csxtril_count_kernelILj1024EL20rocsparse_diag_type_0ELS1_1EiiEEvT3_PKT2_PKS2_21rocsparse_index_base_PS3_S9_
		.amdhsa_group_segment_fixed_size 0
		.amdhsa_private_segment_fixed_size 0
		.amdhsa_kernarg_size 304
		.amdhsa_user_sgpr_count 2
		.amdhsa_user_sgpr_dispatch_ptr 0
		.amdhsa_user_sgpr_queue_ptr 0
		.amdhsa_user_sgpr_kernarg_segment_ptr 1
		.amdhsa_user_sgpr_dispatch_id 0
		.amdhsa_user_sgpr_kernarg_preload_length 0
		.amdhsa_user_sgpr_kernarg_preload_offset 0
		.amdhsa_user_sgpr_private_segment_size 0
		.amdhsa_wavefront_size32 1
		.amdhsa_uses_dynamic_stack 0
		.amdhsa_enable_private_segment 0
		.amdhsa_system_sgpr_workgroup_id_x 1
		.amdhsa_system_sgpr_workgroup_id_y 0
		.amdhsa_system_sgpr_workgroup_id_z 0
		.amdhsa_system_sgpr_workgroup_info 0
		.amdhsa_system_vgpr_workitem_id 0
		.amdhsa_next_free_vgpr 18
		.amdhsa_next_free_sgpr 10
		.amdhsa_named_barrier_count 0
		.amdhsa_reserve_vcc 1
		.amdhsa_float_round_mode_32 0
		.amdhsa_float_round_mode_16_64 0
		.amdhsa_float_denorm_mode_32 3
		.amdhsa_float_denorm_mode_16_64 3
		.amdhsa_fp16_overflow 0
		.amdhsa_memory_ordered 1
		.amdhsa_forward_progress 1
		.amdhsa_inst_pref_size 6
		.amdhsa_round_robin_scheduling 0
		.amdhsa_exception_fp_ieee_invalid_op 0
		.amdhsa_exception_fp_denorm_src 0
		.amdhsa_exception_fp_ieee_div_zero 0
		.amdhsa_exception_fp_ieee_overflow 0
		.amdhsa_exception_fp_ieee_underflow 0
		.amdhsa_exception_fp_ieee_inexact 0
		.amdhsa_exception_int_div_zero 0
	.end_amdhsa_kernel
	.section	.text._ZN9rocsparseL20csxtril_count_kernelILj1024EL20rocsparse_diag_type_0ELS1_1EiiEEvT3_PKT2_PKS2_21rocsparse_index_base_PS3_S9_,"axG",@progbits,_ZN9rocsparseL20csxtril_count_kernelILj1024EL20rocsparse_diag_type_0ELS1_1EiiEEvT3_PKT2_PKS2_21rocsparse_index_base_PS3_S9_,comdat
.Lfunc_end2:
	.size	_ZN9rocsparseL20csxtril_count_kernelILj1024EL20rocsparse_diag_type_0ELS1_1EiiEEvT3_PKT2_PKS2_21rocsparse_index_base_PS3_S9_, .Lfunc_end2-_ZN9rocsparseL20csxtril_count_kernelILj1024EL20rocsparse_diag_type_0ELS1_1EiiEEvT3_PKT2_PKS2_21rocsparse_index_base_PS3_S9_
                                        ; -- End function
	.set _ZN9rocsparseL20csxtril_count_kernelILj1024EL20rocsparse_diag_type_0ELS1_1EiiEEvT3_PKT2_PKS2_21rocsparse_index_base_PS3_S9_.num_vgpr, 18
	.set _ZN9rocsparseL20csxtril_count_kernelILj1024EL20rocsparse_diag_type_0ELS1_1EiiEEvT3_PKT2_PKS2_21rocsparse_index_base_PS3_S9_.num_agpr, 0
	.set _ZN9rocsparseL20csxtril_count_kernelILj1024EL20rocsparse_diag_type_0ELS1_1EiiEEvT3_PKT2_PKS2_21rocsparse_index_base_PS3_S9_.numbered_sgpr, 10
	.set _ZN9rocsparseL20csxtril_count_kernelILj1024EL20rocsparse_diag_type_0ELS1_1EiiEEvT3_PKT2_PKS2_21rocsparse_index_base_PS3_S9_.num_named_barrier, 0
	.set _ZN9rocsparseL20csxtril_count_kernelILj1024EL20rocsparse_diag_type_0ELS1_1EiiEEvT3_PKT2_PKS2_21rocsparse_index_base_PS3_S9_.private_seg_size, 0
	.set _ZN9rocsparseL20csxtril_count_kernelILj1024EL20rocsparse_diag_type_0ELS1_1EiiEEvT3_PKT2_PKS2_21rocsparse_index_base_PS3_S9_.uses_vcc, 1
	.set _ZN9rocsparseL20csxtril_count_kernelILj1024EL20rocsparse_diag_type_0ELS1_1EiiEEvT3_PKT2_PKS2_21rocsparse_index_base_PS3_S9_.uses_flat_scratch, 0
	.set _ZN9rocsparseL20csxtril_count_kernelILj1024EL20rocsparse_diag_type_0ELS1_1EiiEEvT3_PKT2_PKS2_21rocsparse_index_base_PS3_S9_.has_dyn_sized_stack, 0
	.set _ZN9rocsparseL20csxtril_count_kernelILj1024EL20rocsparse_diag_type_0ELS1_1EiiEEvT3_PKT2_PKS2_21rocsparse_index_base_PS3_S9_.has_recursion, 0
	.set _ZN9rocsparseL20csxtril_count_kernelILj1024EL20rocsparse_diag_type_0ELS1_1EiiEEvT3_PKT2_PKS2_21rocsparse_index_base_PS3_S9_.has_indirect_call, 0
	.section	.AMDGPU.csdata,"",@progbits
; Kernel info:
; codeLenInByte = 692
; TotalNumSgprs: 12
; NumVgprs: 18
; ScratchSize: 0
; MemoryBound: 0
; FloatMode: 240
; IeeeMode: 1
; LDSByteSize: 0 bytes/workgroup (compile time only)
; SGPRBlocks: 0
; VGPRBlocks: 1
; NumSGPRsForWavesPerEU: 12
; NumVGPRsForWavesPerEU: 18
; NamedBarCnt: 0
; Occupancy: 16
; WaveLimiterHint : 0
; COMPUTE_PGM_RSRC2:SCRATCH_EN: 0
; COMPUTE_PGM_RSRC2:USER_SGPR: 2
; COMPUTE_PGM_RSRC2:TRAP_HANDLER: 0
; COMPUTE_PGM_RSRC2:TGID_X_EN: 1
; COMPUTE_PGM_RSRC2:TGID_Y_EN: 0
; COMPUTE_PGM_RSRC2:TGID_Z_EN: 0
; COMPUTE_PGM_RSRC2:TIDIG_COMP_CNT: 0
	.section	.AMDGPU.gpr_maximums,"",@progbits
	.set amdgpu.max_num_vgpr, 0
	.set amdgpu.max_num_agpr, 0
	.set amdgpu.max_num_sgpr, 0
	.section	.AMDGPU.csdata,"",@progbits
	.type	__hip_cuid_fbc7c6648d7962d3,@object ; @__hip_cuid_fbc7c6648d7962d3
	.section	.bss,"aw",@nobits
	.globl	__hip_cuid_fbc7c6648d7962d3
__hip_cuid_fbc7c6648d7962d3:
	.byte	0                               ; 0x0
	.size	__hip_cuid_fbc7c6648d7962d3, 1

	.ident	"AMD clang version 22.0.0git (https://github.com/RadeonOpenCompute/llvm-project roc-7.2.4 26084 f58b06dce1f9c15707c5f808fd002e18c2accf7e)"
	.section	".note.GNU-stack","",@progbits
	.addrsig
	.addrsig_sym __hip_cuid_fbc7c6648d7962d3
	.amdgpu_metadata
---
amdhsa.kernels:
  - .args:
      - .offset:         0
        .size:           4
        .value_kind:     by_value
      - .address_space:  global
        .offset:         8
        .size:           8
        .value_kind:     global_buffer
      - .address_space:  global
        .offset:         16
        .size:           8
        .value_kind:     global_buffer
      - .offset:         24
        .size:           4
        .value_kind:     by_value
      - .address_space:  global
        .offset:         32
        .size:           8
        .value_kind:     global_buffer
      - .address_space:  global
        .offset:         40
        .size:           8
        .value_kind:     global_buffer
      - .offset:         48
        .size:           4
        .value_kind:     hidden_block_count_x
      - .offset:         52
        .size:           4
        .value_kind:     hidden_block_count_y
      - .offset:         56
        .size:           4
        .value_kind:     hidden_block_count_z
      - .offset:         60
        .size:           2
        .value_kind:     hidden_group_size_x
      - .offset:         62
        .size:           2
        .value_kind:     hidden_group_size_y
      - .offset:         64
        .size:           2
        .value_kind:     hidden_group_size_z
      - .offset:         66
        .size:           2
        .value_kind:     hidden_remainder_x
      - .offset:         68
        .size:           2
        .value_kind:     hidden_remainder_y
      - .offset:         70
        .size:           2
        .value_kind:     hidden_remainder_z
      - .offset:         88
        .size:           8
        .value_kind:     hidden_global_offset_x
      - .offset:         96
        .size:           8
        .value_kind:     hidden_global_offset_y
      - .offset:         104
        .size:           8
        .value_kind:     hidden_global_offset_z
      - .offset:         112
        .size:           2
        .value_kind:     hidden_grid_dims
    .group_segment_fixed_size: 0
    .kernarg_segment_align: 8
    .kernarg_segment_size: 304
    .language:       OpenCL C
    .language_version:
      - 2
      - 0
    .max_flat_workgroup_size: 1024
    .name:           _ZN9rocsparseL20csxtril_count_kernelILj1024EL20rocsparse_diag_type_1ELS1_0EiiEEvT3_PKT2_PKS2_21rocsparse_index_base_PS3_S9_
    .private_segment_fixed_size: 0
    .sgpr_count:     12
    .sgpr_spill_count: 0
    .symbol:         _ZN9rocsparseL20csxtril_count_kernelILj1024EL20rocsparse_diag_type_1ELS1_0EiiEEvT3_PKT2_PKS2_21rocsparse_index_base_PS3_S9_.kd
    .uniform_work_group_size: 1
    .uses_dynamic_stack: false
    .vgpr_count:     18
    .vgpr_spill_count: 0
    .wavefront_size: 32
  - .args:
      - .offset:         0
        .size:           4
        .value_kind:     by_value
      - .address_space:  global
        .offset:         8
        .size:           8
        .value_kind:     global_buffer
      - .address_space:  global
        .offset:         16
        .size:           8
        .value_kind:     global_buffer
      - .offset:         24
        .size:           4
        .value_kind:     by_value
      - .address_space:  global
        .offset:         32
        .size:           8
        .value_kind:     global_buffer
      - .address_space:  global
        .offset:         40
        .size:           8
        .value_kind:     global_buffer
      - .offset:         48
        .size:           4
        .value_kind:     hidden_block_count_x
      - .offset:         52
        .size:           4
        .value_kind:     hidden_block_count_y
      - .offset:         56
        .size:           4
        .value_kind:     hidden_block_count_z
      - .offset:         60
        .size:           2
        .value_kind:     hidden_group_size_x
      - .offset:         62
        .size:           2
        .value_kind:     hidden_group_size_y
      - .offset:         64
        .size:           2
        .value_kind:     hidden_group_size_z
      - .offset:         66
        .size:           2
        .value_kind:     hidden_remainder_x
      - .offset:         68
        .size:           2
        .value_kind:     hidden_remainder_y
      - .offset:         70
        .size:           2
        .value_kind:     hidden_remainder_z
      - .offset:         88
        .size:           8
        .value_kind:     hidden_global_offset_x
      - .offset:         96
        .size:           8
        .value_kind:     hidden_global_offset_y
      - .offset:         104
        .size:           8
        .value_kind:     hidden_global_offset_z
      - .offset:         112
        .size:           2
        .value_kind:     hidden_grid_dims
    .group_segment_fixed_size: 0
    .kernarg_segment_align: 8
    .kernarg_segment_size: 304
    .language:       OpenCL C
    .language_version:
      - 2
      - 0
    .max_flat_workgroup_size: 1024
    .name:           _ZN9rocsparseL20csxtril_count_kernelILj1024EL20rocsparse_diag_type_1ELS1_1EiiEEvT3_PKT2_PKS2_21rocsparse_index_base_PS3_S9_
    .private_segment_fixed_size: 0
    .sgpr_count:     12
    .sgpr_spill_count: 0
    .symbol:         _ZN9rocsparseL20csxtril_count_kernelILj1024EL20rocsparse_diag_type_1ELS1_1EiiEEvT3_PKT2_PKS2_21rocsparse_index_base_PS3_S9_.kd
    .uniform_work_group_size: 1
    .uses_dynamic_stack: false
    .vgpr_count:     18
    .vgpr_spill_count: 0
    .wavefront_size: 32
  - .args:
      - .offset:         0
        .size:           4
        .value_kind:     by_value
      - .address_space:  global
        .offset:         8
        .size:           8
        .value_kind:     global_buffer
      - .address_space:  global
        .offset:         16
        .size:           8
        .value_kind:     global_buffer
      - .offset:         24
        .size:           4
        .value_kind:     by_value
      - .address_space:  global
        .offset:         32
        .size:           8
        .value_kind:     global_buffer
      - .address_space:  global
        .offset:         40
        .size:           8
        .value_kind:     global_buffer
      - .offset:         48
        .size:           4
        .value_kind:     hidden_block_count_x
      - .offset:         52
        .size:           4
        .value_kind:     hidden_block_count_y
      - .offset:         56
        .size:           4
        .value_kind:     hidden_block_count_z
      - .offset:         60
        .size:           2
        .value_kind:     hidden_group_size_x
      - .offset:         62
        .size:           2
        .value_kind:     hidden_group_size_y
      - .offset:         64
        .size:           2
        .value_kind:     hidden_group_size_z
      - .offset:         66
        .size:           2
        .value_kind:     hidden_remainder_x
      - .offset:         68
        .size:           2
        .value_kind:     hidden_remainder_y
      - .offset:         70
        .size:           2
        .value_kind:     hidden_remainder_z
      - .offset:         88
        .size:           8
        .value_kind:     hidden_global_offset_x
      - .offset:         96
        .size:           8
        .value_kind:     hidden_global_offset_y
      - .offset:         104
        .size:           8
        .value_kind:     hidden_global_offset_z
      - .offset:         112
        .size:           2
        .value_kind:     hidden_grid_dims
    .group_segment_fixed_size: 0
    .kernarg_segment_align: 8
    .kernarg_segment_size: 304
    .language:       OpenCL C
    .language_version:
      - 2
      - 0
    .max_flat_workgroup_size: 1024
    .name:           _ZN9rocsparseL20csxtril_count_kernelILj1024EL20rocsparse_diag_type_0ELS1_1EiiEEvT3_PKT2_PKS2_21rocsparse_index_base_PS3_S9_
    .private_segment_fixed_size: 0
    .sgpr_count:     12
    .sgpr_spill_count: 0
    .symbol:         _ZN9rocsparseL20csxtril_count_kernelILj1024EL20rocsparse_diag_type_0ELS1_1EiiEEvT3_PKT2_PKS2_21rocsparse_index_base_PS3_S9_.kd
    .uniform_work_group_size: 1
    .uses_dynamic_stack: false
    .vgpr_count:     18
    .vgpr_spill_count: 0
    .wavefront_size: 32
amdhsa.target:   amdgcn-amd-amdhsa--gfx1250
amdhsa.version:
  - 1
  - 2
...

	.end_amdgpu_metadata
